;; amdgpu-corpus repo=ROCm/rocFFT kind=compiled arch=gfx906 opt=O3
	.text
	.amdgcn_target "amdgcn-amd-amdhsa--gfx906"
	.amdhsa_code_object_version 6
	.protected	fft_rtc_back_len221_factors_17_13_wgs_119_tpt_17_halfLds_sp_op_CI_CI_sbrr_dirReg ; -- Begin function fft_rtc_back_len221_factors_17_13_wgs_119_tpt_17_halfLds_sp_op_CI_CI_sbrr_dirReg
	.globl	fft_rtc_back_len221_factors_17_13_wgs_119_tpt_17_halfLds_sp_op_CI_CI_sbrr_dirReg
	.p2align	8
	.type	fft_rtc_back_len221_factors_17_13_wgs_119_tpt_17_halfLds_sp_op_CI_CI_sbrr_dirReg,@function
fft_rtc_back_len221_factors_17_13_wgs_119_tpt_17_halfLds_sp_op_CI_CI_sbrr_dirReg: ; @fft_rtc_back_len221_factors_17_13_wgs_119_tpt_17_halfLds_sp_op_CI_CI_sbrr_dirReg
; %bb.0:
	s_load_dwordx4 s[16:19], s[4:5], 0x18
	s_load_dwordx4 s[12:15], s[4:5], 0x0
	;; [unrolled: 1-line block ×3, first 2 shown]
	v_mul_u32_u24_e32 v1, 0xf10, v0
	v_lshrrev_b32_e32 v1, 16, v1
	v_mad_u64_u32 v[39:40], s[0:1], s6, 7, v[1:2]
	s_waitcnt lgkmcnt(0)
	s_load_dwordx2 s[20:21], s[16:17], 0x0
	s_load_dwordx2 s[2:3], s[18:19], 0x0
	v_mov_b32_e32 v5, 0
	v_cmp_lt_u64_e64 s[0:1], s[14:15], 2
	v_mov_b32_e32 v41, 0
	v_mov_b32_e32 v40, v5
	;; [unrolled: 1-line block ×5, first 2 shown]
	s_and_b64 vcc, exec, s[0:1]
	v_mov_b32_e32 v2, v42
	v_mov_b32_e32 v4, v40
	s_cbranch_vccnz .LBB0_8
; %bb.1:
	s_load_dwordx2 s[0:1], s[4:5], 0x10
	s_add_u32 s6, s18, 8
	s_addc_u32 s7, s19, 0
	s_add_u32 s22, s16, 8
	s_addc_u32 s23, s17, 0
	v_mov_b32_e32 v41, 0
	s_waitcnt lgkmcnt(0)
	s_add_u32 s24, s0, 8
	v_mov_b32_e32 v42, 0
	v_mov_b32_e32 v1, v41
	;; [unrolled: 1-line block ×3, first 2 shown]
	s_addc_u32 s25, s1, 0
	s_mov_b64 s[26:27], 1
	v_mov_b32_e32 v2, v42
	v_mov_b32_e32 v8, v40
.LBB0_2:                                ; =>This Inner Loop Header: Depth=1
	s_load_dwordx2 s[28:29], s[24:25], 0x0
                                        ; implicit-def: $vgpr3_vgpr4
	s_waitcnt lgkmcnt(0)
	v_or_b32_e32 v6, s29, v8
	v_cmp_ne_u64_e32 vcc, 0, v[5:6]
	s_and_saveexec_b64 s[0:1], vcc
	s_xor_b64 s[30:31], exec, s[0:1]
	s_cbranch_execz .LBB0_4
; %bb.3:                                ;   in Loop: Header=BB0_2 Depth=1
	v_cvt_f32_u32_e32 v3, s28
	v_cvt_f32_u32_e32 v4, s29
	s_sub_u32 s0, 0, s28
	s_subb_u32 s1, 0, s29
	v_mac_f32_e32 v3, 0x4f800000, v4
	v_rcp_f32_e32 v3, v3
	v_mul_f32_e32 v3, 0x5f7ffffc, v3
	v_mul_f32_e32 v4, 0x2f800000, v3
	v_trunc_f32_e32 v4, v4
	v_mac_f32_e32 v3, 0xcf800000, v4
	v_cvt_u32_f32_e32 v4, v4
	v_cvt_u32_f32_e32 v3, v3
	v_mul_lo_u32 v6, s0, v4
	v_mul_hi_u32 v9, s0, v3
	v_mul_lo_u32 v11, s1, v3
	v_mul_lo_u32 v10, s0, v3
	v_add_u32_e32 v6, v9, v6
	v_add_u32_e32 v6, v6, v11
	v_mul_hi_u32 v9, v3, v10
	v_mul_lo_u32 v11, v3, v6
	v_mul_hi_u32 v13, v3, v6
	v_mul_hi_u32 v12, v4, v10
	v_mul_lo_u32 v10, v4, v10
	v_mul_hi_u32 v14, v4, v6
	v_add_co_u32_e32 v9, vcc, v9, v11
	v_addc_co_u32_e32 v11, vcc, 0, v13, vcc
	v_mul_lo_u32 v6, v4, v6
	v_add_co_u32_e32 v9, vcc, v9, v10
	v_addc_co_u32_e32 v9, vcc, v11, v12, vcc
	v_addc_co_u32_e32 v10, vcc, 0, v14, vcc
	v_add_co_u32_e32 v6, vcc, v9, v6
	v_addc_co_u32_e32 v9, vcc, 0, v10, vcc
	v_add_co_u32_e32 v3, vcc, v3, v6
	v_addc_co_u32_e32 v4, vcc, v4, v9, vcc
	v_mul_lo_u32 v6, s0, v4
	v_mul_hi_u32 v9, s0, v3
	v_mul_lo_u32 v10, s1, v3
	v_mul_lo_u32 v11, s0, v3
	v_add_u32_e32 v6, v9, v6
	v_add_u32_e32 v6, v6, v10
	v_mul_lo_u32 v12, v3, v6
	v_mul_hi_u32 v13, v3, v11
	v_mul_hi_u32 v14, v3, v6
	;; [unrolled: 1-line block ×3, first 2 shown]
	v_mul_lo_u32 v11, v4, v11
	v_mul_hi_u32 v9, v4, v6
	v_add_co_u32_e32 v12, vcc, v13, v12
	v_addc_co_u32_e32 v13, vcc, 0, v14, vcc
	v_mul_lo_u32 v6, v4, v6
	v_add_co_u32_e32 v11, vcc, v12, v11
	v_addc_co_u32_e32 v10, vcc, v13, v10, vcc
	v_addc_co_u32_e32 v9, vcc, 0, v9, vcc
	v_add_co_u32_e32 v6, vcc, v10, v6
	v_addc_co_u32_e32 v9, vcc, 0, v9, vcc
	v_add_co_u32_e32 v6, vcc, v3, v6
	v_addc_co_u32_e32 v9, vcc, v4, v9, vcc
	v_mad_u64_u32 v[3:4], s[0:1], v7, v9, 0
	v_mul_hi_u32 v10, v7, v6
	v_add_co_u32_e32 v11, vcc, v10, v3
	v_addc_co_u32_e32 v12, vcc, 0, v4, vcc
	v_mad_u64_u32 v[3:4], s[0:1], v8, v6, 0
	v_mad_u64_u32 v[9:10], s[0:1], v8, v9, 0
	v_add_co_u32_e32 v3, vcc, v11, v3
	v_addc_co_u32_e32 v3, vcc, v12, v4, vcc
	v_addc_co_u32_e32 v4, vcc, 0, v10, vcc
	v_add_co_u32_e32 v6, vcc, v3, v9
	v_addc_co_u32_e32 v9, vcc, 0, v4, vcc
	v_mul_lo_u32 v10, s29, v6
	v_mul_lo_u32 v11, s28, v9
	v_mad_u64_u32 v[3:4], s[0:1], s28, v6, 0
	v_add3_u32 v4, v4, v11, v10
	v_sub_u32_e32 v10, v8, v4
	v_mov_b32_e32 v11, s29
	v_sub_co_u32_e32 v3, vcc, v7, v3
	v_subb_co_u32_e64 v10, s[0:1], v10, v11, vcc
	v_subrev_co_u32_e64 v11, s[0:1], s28, v3
	v_subbrev_co_u32_e64 v10, s[0:1], 0, v10, s[0:1]
	v_cmp_le_u32_e64 s[0:1], s29, v10
	v_cndmask_b32_e64 v12, 0, -1, s[0:1]
	v_cmp_le_u32_e64 s[0:1], s28, v11
	v_cndmask_b32_e64 v11, 0, -1, s[0:1]
	v_cmp_eq_u32_e64 s[0:1], s29, v10
	v_cndmask_b32_e64 v10, v12, v11, s[0:1]
	v_add_co_u32_e64 v11, s[0:1], 2, v6
	v_addc_co_u32_e64 v12, s[0:1], 0, v9, s[0:1]
	v_add_co_u32_e64 v13, s[0:1], 1, v6
	v_addc_co_u32_e64 v14, s[0:1], 0, v9, s[0:1]
	v_subb_co_u32_e32 v4, vcc, v8, v4, vcc
	v_cmp_ne_u32_e64 s[0:1], 0, v10
	v_cmp_le_u32_e32 vcc, s29, v4
	v_cndmask_b32_e64 v10, v14, v12, s[0:1]
	v_cndmask_b32_e64 v12, 0, -1, vcc
	v_cmp_le_u32_e32 vcc, s28, v3
	v_cndmask_b32_e64 v3, 0, -1, vcc
	v_cmp_eq_u32_e32 vcc, s29, v4
	v_cndmask_b32_e32 v3, v12, v3, vcc
	v_cmp_ne_u32_e32 vcc, 0, v3
	v_cndmask_b32_e64 v3, v13, v11, s[0:1]
	v_cndmask_b32_e32 v4, v9, v10, vcc
	v_cndmask_b32_e32 v3, v6, v3, vcc
.LBB0_4:                                ;   in Loop: Header=BB0_2 Depth=1
	s_andn2_saveexec_b64 s[0:1], s[30:31]
	s_cbranch_execz .LBB0_6
; %bb.5:                                ;   in Loop: Header=BB0_2 Depth=1
	v_cvt_f32_u32_e32 v3, s28
	s_sub_i32 s30, 0, s28
	v_rcp_iflag_f32_e32 v3, v3
	v_mul_f32_e32 v3, 0x4f7ffffe, v3
	v_cvt_u32_f32_e32 v3, v3
	v_mul_lo_u32 v4, s30, v3
	v_mul_hi_u32 v4, v3, v4
	v_add_u32_e32 v3, v3, v4
	v_mul_hi_u32 v3, v7, v3
	v_mul_lo_u32 v4, v3, s28
	v_add_u32_e32 v6, 1, v3
	v_sub_u32_e32 v4, v7, v4
	v_subrev_u32_e32 v9, s28, v4
	v_cmp_le_u32_e32 vcc, s28, v4
	v_cndmask_b32_e32 v4, v4, v9, vcc
	v_cndmask_b32_e32 v3, v3, v6, vcc
	v_add_u32_e32 v6, 1, v3
	v_cmp_le_u32_e32 vcc, s28, v4
	v_cndmask_b32_e32 v3, v3, v6, vcc
	v_mov_b32_e32 v4, v5
.LBB0_6:                                ;   in Loop: Header=BB0_2 Depth=1
	s_or_b64 exec, exec, s[0:1]
	v_mul_lo_u32 v6, v4, s28
	v_mul_lo_u32 v11, v3, s29
	v_mad_u64_u32 v[9:10], s[0:1], v3, s28, 0
	s_load_dwordx2 s[0:1], s[22:23], 0x0
	s_load_dwordx2 s[28:29], s[6:7], 0x0
	v_add3_u32 v6, v10, v11, v6
	v_sub_co_u32_e32 v7, vcc, v7, v9
	v_subb_co_u32_e32 v6, vcc, v8, v6, vcc
	s_waitcnt lgkmcnt(0)
	v_mul_lo_u32 v8, s0, v6
	v_mul_lo_u32 v9, s1, v7
	v_mad_u64_u32 v[41:42], s[0:1], s0, v7, v[41:42]
	v_mul_lo_u32 v6, s28, v6
	v_mul_lo_u32 v10, s29, v7
	v_mad_u64_u32 v[1:2], s[0:1], s28, v7, v[1:2]
	s_add_u32 s26, s26, 1
	s_addc_u32 s27, s27, 0
	s_add_u32 s6, s6, 8
	v_add3_u32 v2, v10, v2, v6
	s_addc_u32 s7, s7, 0
	v_mov_b32_e32 v6, s14
	s_add_u32 s22, s22, 8
	v_mov_b32_e32 v7, s15
	s_addc_u32 s23, s23, 0
	v_cmp_ge_u64_e32 vcc, s[26:27], v[6:7]
	s_add_u32 s24, s24, 8
	v_add3_u32 v42, v9, v42, v8
	s_addc_u32 s25, s25, 0
	s_cbranch_vccnz .LBB0_8
; %bb.7:                                ;   in Loop: Header=BB0_2 Depth=1
	v_mov_b32_e32 v8, v4
	v_mov_b32_e32 v7, v3
	s_branch .LBB0_2
.LBB0_8:
	s_lshl_b64 s[22:23], s[14:15], 3
	s_load_dwordx2 s[0:1], s[4:5], 0x28
	s_add_u32 s4, s18, s22
	s_mov_b32 s5, 0xf0f0f10
	v_mul_hi_u32 v5, v0, s5
	s_addc_u32 s5, s19, s23
	s_load_dwordx2 s[4:5], s[4:5], 0x0
	s_waitcnt lgkmcnt(0)
	v_cmp_gt_u64_e32 vcc, s[0:1], v[3:4]
	v_mul_u32_u24_e32 v5, 17, v5
	v_sub_u32_e32 v51, v0, v5
	v_mov_b32_e32 v30, 0
	v_mov_b32_e32 v0, 0
	;; [unrolled: 1-line block ×3, first 2 shown]
                                        ; implicit-def: $vgpr36
                                        ; implicit-def: $vgpr32
                                        ; implicit-def: $vgpr26
                                        ; implicit-def: $vgpr24
                                        ; implicit-def: $vgpr18
                                        ; implicit-def: $vgpr14
                                        ; implicit-def: $vgpr10
                                        ; implicit-def: $vgpr6
                                        ; implicit-def: $vgpr38
                                        ; implicit-def: $vgpr34
                                        ; implicit-def: $vgpr28
                                        ; implicit-def: $vgpr22
                                        ; implicit-def: $vgpr20
                                        ; implicit-def: $vgpr16
                                        ; implicit-def: $vgpr12
                                        ; implicit-def: $vgpr8
	s_and_saveexec_b64 s[6:7], vcc
	s_cbranch_execz .LBB0_12
; %bb.9:
	v_cmp_gt_u32_e64 s[0:1], 13, v51
	v_mov_b32_e32 v29, 0
	v_mov_b32_e32 v30, 0
                                        ; implicit-def: $vgpr7
                                        ; implicit-def: $vgpr11
                                        ; implicit-def: $vgpr15
                                        ; implicit-def: $vgpr19
                                        ; implicit-def: $vgpr21
                                        ; implicit-def: $vgpr27
                                        ; implicit-def: $vgpr33
                                        ; implicit-def: $vgpr37
                                        ; implicit-def: $vgpr5
                                        ; implicit-def: $vgpr9
                                        ; implicit-def: $vgpr13
                                        ; implicit-def: $vgpr17
                                        ; implicit-def: $vgpr23
                                        ; implicit-def: $vgpr25
                                        ; implicit-def: $vgpr31
                                        ; implicit-def: $vgpr35
	s_and_saveexec_b64 s[14:15], s[0:1]
	s_cbranch_execz .LBB0_11
; %bb.10:
	s_add_u32 s0, s16, s22
	s_addc_u32 s1, s17, s23
	s_load_dwordx2 s[0:1], s[0:1], 0x0
	v_mad_u64_u32 v[5:6], s[16:17], s20, v51, 0
	v_mov_b32_e32 v0, v6
	s_waitcnt lgkmcnt(0)
	v_mul_lo_u32 v11, s1, v3
	v_mul_lo_u32 v12, s0, v4
	v_mad_u64_u32 v[7:8], s[0:1], s0, v3, 0
	v_mad_u64_u32 v[9:10], s[0:1], s21, v51, v[0:1]
	v_add3_u32 v8, v8, v12, v11
	v_lshlrev_b64 v[7:8], 3, v[7:8]
	v_mov_b32_e32 v0, s9
	v_add_co_u32_e64 v11, s[0:1], s8, v7
	v_add_u32_e32 v12, 13, v51
	v_mov_b32_e32 v6, v9
	v_addc_co_u32_e64 v0, s[0:1], v0, v8, s[0:1]
	v_mad_u64_u32 v[9:10], s[0:1], s20, v12, 0
	v_lshlrev_b64 v[7:8], 3, v[41:42]
	v_lshlrev_b64 v[5:6], 3, v[5:6]
	v_add_co_u32_e64 v13, s[0:1], v11, v7
	v_addc_co_u32_e64 v14, s[0:1], v0, v8, s[0:1]
	v_mov_b32_e32 v0, v10
	v_mad_u64_u32 v[7:8], s[0:1], s21, v12, v[0:1]
	v_add_u32_e32 v8, 26, v51
	v_mad_u64_u32 v[11:12], s[0:1], s20, v8, 0
	v_add_co_u32_e64 v33, s[0:1], v13, v5
	v_mov_b32_e32 v10, v7
	v_mov_b32_e32 v0, v12
	v_addc_co_u32_e64 v34, s[0:1], v14, v6, s[0:1]
	v_lshlrev_b64 v[5:6], 3, v[9:10]
	v_mad_u64_u32 v[7:8], s[0:1], s21, v8, v[0:1]
	v_add_u32_e32 v10, 39, v51
	v_mad_u64_u32 v[8:9], s[0:1], s20, v10, 0
	v_add_co_u32_e64 v37, s[0:1], v13, v5
	v_mov_b32_e32 v0, v9
	v_addc_co_u32_e64 v38, s[0:1], v14, v6, s[0:1]
	v_mov_b32_e32 v12, v7
	v_mad_u64_u32 v[9:10], s[0:1], s21, v10, v[0:1]
	v_add_u32_e32 v7, 52, v51
	v_lshlrev_b64 v[5:6], 3, v[11:12]
	v_mad_u64_u32 v[10:11], s[0:1], s20, v7, 0
	v_add_co_u32_e64 v40, s[0:1], v13, v5
	v_mov_b32_e32 v0, v11
	v_addc_co_u32_e64 v41, s[0:1], v14, v6, s[0:1]
	v_lshlrev_b64 v[5:6], 3, v[8:9]
	v_mad_u64_u32 v[7:8], s[0:1], s21, v7, v[0:1]
	v_add_u32_e32 v12, 0x41, v51
	v_mad_u64_u32 v[8:9], s[0:1], s20, v12, 0
	v_add_co_u32_e64 v42, s[0:1], v13, v5
	v_mov_b32_e32 v11, v7
	v_mov_b32_e32 v0, v9
	v_addc_co_u32_e64 v43, s[0:1], v14, v6, s[0:1]
	v_lshlrev_b64 v[5:6], 3, v[10:11]
	v_mad_u64_u32 v[9:10], s[0:1], s21, v12, v[0:1]
	v_add_u32_e32 v7, 0x4e, v51
	v_mad_u64_u32 v[10:11], s[0:1], s20, v7, 0
	v_add_co_u32_e64 v44, s[0:1], v13, v5
	v_mov_b32_e32 v0, v11
	v_addc_co_u32_e64 v45, s[0:1], v14, v6, s[0:1]
	v_lshlrev_b64 v[5:6], 3, v[8:9]
	v_mad_u64_u32 v[7:8], s[0:1], s21, v7, v[0:1]
	v_add_u32_e32 v12, 0x5b, v51
	v_mad_u64_u32 v[8:9], s[0:1], s20, v12, 0
	v_add_co_u32_e64 v46, s[0:1], v13, v5
	v_mov_b32_e32 v11, v7
	v_mov_b32_e32 v0, v9
	v_addc_co_u32_e64 v47, s[0:1], v14, v6, s[0:1]
	v_lshlrev_b64 v[5:6], 3, v[10:11]
	v_mad_u64_u32 v[9:10], s[0:1], s21, v12, v[0:1]
	v_add_u32_e32 v7, 0x68, v51
	;; [unrolled: 15-line block ×5, first 2 shown]
	v_mad_u64_u32 v[10:11], s[0:1], s20, v7, 0
	v_add_co_u32_e64 v62, s[0:1], v13, v5
	v_mov_b32_e32 v0, v11
	v_addc_co_u32_e64 v63, s[0:1], v14, v6, s[0:1]
	v_lshlrev_b64 v[5:6], 3, v[8:9]
	v_mad_u64_u32 v[7:8], s[0:1], s21, v7, v[0:1]
	v_add_u32_e32 v12, 0xc3, v51
	v_mad_u64_u32 v[8:9], s[0:1], s20, v12, 0
	v_add_co_u32_e64 v64, s[0:1], v13, v5
	v_mov_b32_e32 v11, v7
	v_mov_b32_e32 v0, v9
	v_addc_co_u32_e64 v65, s[0:1], v14, v6, s[0:1]
	v_lshlrev_b64 v[5:6], 3, v[10:11]
	v_mad_u64_u32 v[9:10], s[0:1], s21, v12, v[0:1]
	v_or_b32_e32 v7, 0xd0, v51
	v_mad_u64_u32 v[10:11], s[0:1], s20, v7, 0
	v_add_co_u32_e64 v66, s[0:1], v13, v5
	v_mov_b32_e32 v0, v11
	v_addc_co_u32_e64 v67, s[0:1], v14, v6, s[0:1]
	v_lshlrev_b64 v[5:6], 3, v[8:9]
	v_mad_u64_u32 v[7:8], s[0:1], s21, v7, v[0:1]
	v_add_co_u32_e64 v68, s[0:1], v13, v5
	v_mov_b32_e32 v11, v7
	v_addc_co_u32_e64 v69, s[0:1], v14, v6, s[0:1]
	v_lshlrev_b64 v[5:6], 3, v[10:11]
	v_add_co_u32_e64 v70, s[0:1], v13, v5
	v_addc_co_u32_e64 v71, s[0:1], v14, v6, s[0:1]
	global_load_dwordx2 v[29:30], v[33:34], off
	global_load_dwordx2 v[35:36], v[37:38], off
	global_load_dwordx2 v[31:32], v[40:41], off
	global_load_dwordx2 v[25:26], v[42:43], off
	global_load_dwordx2 v[23:24], v[44:45], off
	global_load_dwordx2 v[17:18], v[46:47], off
	global_load_dwordx2 v[13:14], v[48:49], off
	global_load_dwordx2 v[9:10], v[52:53], off
	global_load_dwordx2 v[5:6], v[54:55], off
	global_load_dwordx2 v[7:8], v[56:57], off
	global_load_dwordx2 v[11:12], v[58:59], off
	global_load_dwordx2 v[15:16], v[60:61], off
	global_load_dwordx2 v[19:20], v[62:63], off
	global_load_dwordx2 v[21:22], v[64:65], off
	global_load_dwordx2 v[27:28], v[66:67], off
                                        ; kill: killed $vgpr58 killed $vgpr59
                                        ; kill: killed $vgpr46 killed $vgpr47
                                        ; kill: killed $vgpr33 killed $vgpr34
                                        ; kill: killed $vgpr62 killed $vgpr63
                                        ; kill: killed $vgpr52 killed $vgpr53
                                        ; kill: killed $vgpr40 killed $vgpr41
                                        ; kill: killed $vgpr66 killed $vgpr67
                                        ; kill: killed $vgpr56 killed $vgpr57
                                        ; kill: killed $vgpr44 killed $vgpr45
                                        ; kill: killed $vgpr60 killed $vgpr61
                                        ; kill: killed $vgpr48 killed $vgpr49
                                        ; kill: killed $vgpr37 killed $vgpr38
                                        ; kill: killed $vgpr64 killed $vgpr65
                                        ; kill: killed $vgpr54 killed $vgpr55
                                        ; kill: killed $vgpr42 killed $vgpr43
	global_load_dwordx2 v[33:34], v[68:69], off
	global_load_dwordx2 v[37:38], v[70:71], off
.LBB0_11:
	s_or_b64 exec, exec, s[14:15]
	v_mov_b32_e32 v0, v51
.LBB0_12:
	s_or_b64 exec, exec, s[6:7]
	s_mov_b32 s0, 0x24924925
	v_mul_hi_u32 v40, v39, s0
	v_cmp_gt_u32_e64 s[0:1], 13, v51
	v_sub_u32_e32 v41, v39, v40
	v_lshrrev_b32_e32 v41, 1, v41
	v_add_u32_e32 v40, v41, v40
	v_lshrrev_b32_e32 v40, 2, v40
	v_mul_lo_u32 v40, v40, 7
	v_sub_u32_e32 v39, v39, v40
	v_mul_u32_u24_e32 v39, 0xdd, v39
	v_lshlrev_b32_e32 v52, 2, v39
	s_and_saveexec_b64 s[6:7], s[0:1]
	s_cbranch_execz .LBB0_14
; %bb.13:
	s_waitcnt vmcnt(0)
	v_add_f32_e32 v60, v35, v37
	v_mul_f32_e32 v39, 0xbf7ba420, v60
	v_add_f32_e32 v61, v31, v33
	v_sub_f32_e32 v49, v36, v38
	v_mov_b32_e32 v40, v39
	v_mul_f32_e32 v42, 0x3f6eb680, v61
	v_fmac_f32_e32 v40, 0x3e3c28d5, v49
	v_sub_f32_e32 v58, v32, v34
	v_mov_b32_e32 v41, v42
	v_add_f32_e32 v63, v25, v27
	v_add_f32_e32 v40, v29, v40
	v_fmac_f32_e32 v41, 0xbeb8f4ab, v58
	v_mul_f32_e32 v43, 0xbf59a7d5, v63
	v_add_f32_e32 v40, v40, v41
	v_sub_f32_e32 v57, v26, v28
	v_mov_b32_e32 v41, v43
	v_add_f32_e32 v64, v23, v21
	v_fmac_f32_e32 v41, 0x3f06c442, v57
	v_mul_f32_e32 v44, 0x3f3d2fb0, v64
	v_add_f32_e32 v40, v40, v41
	v_sub_f32_e32 v56, v24, v22
	v_mov_b32_e32 v41, v44
	;; [unrolled: 6-line block ×3, first 2 shown]
	v_add_f32_e32 v66, v13, v15
	v_fmac_f32_e32 v41, 0x3f4c4adb, v55
	v_mul_f32_e32 v46, 0x3ee437d1, v66
	v_fmac_f32_e32 v39, 0xbe3c28d5, v49
	v_add_f32_e32 v40, v40, v41
	v_sub_f32_e32 v54, v14, v16
	v_mov_b32_e32 v41, v46
	v_add_f32_e32 v67, v9, v11
	v_add_f32_e32 v39, v29, v39
	v_fmac_f32_e32 v42, 0x3eb8f4ab, v58
	v_fmac_f32_e32 v41, 0xbf65296c, v54
	v_mul_f32_e32 v47, 0xbe8c1d8e, v67
	v_add_f32_e32 v39, v39, v42
	v_fmac_f32_e32 v43, 0xbf06c442, v57
	v_add_f32_e32 v40, v40, v41
	v_sub_f32_e32 v53, v10, v12
	v_mov_b32_e32 v41, v47
	v_add_f32_e32 v68, v5, v7
	v_add_f32_e32 v39, v39, v43
	v_fmac_f32_e32 v44, 0x3f2c7751, v56
	v_fmac_f32_e32 v41, 0x3f763a35, v53
	v_mul_f32_e32 v48, 0x3dbcf732, v68
	v_add_f32_e32 v39, v39, v44
	v_fmac_f32_e32 v45, 0xbf4c4adb, v55
	v_add_f32_e32 v40, v40, v41
	v_sub_f32_e32 v50, v6, v8
	v_mov_b32_e32 v41, v48
	v_add_f32_e32 v39, v39, v45
	v_fmac_f32_e32 v46, 0x3f65296c, v54
	v_fmac_f32_e32 v41, 0xbf7ee86f, v50
	v_add_f32_e32 v39, v39, v46
	v_fmac_f32_e32 v47, 0xbf763a35, v53
	v_add_f32_e32 v41, v40, v41
	v_add_f32_e32 v39, v39, v47
	v_fmac_f32_e32 v48, 0x3f7ee86f, v50
	v_mul_f32_e32 v40, 0xbf59a7d5, v60
	v_add_f32_e32 v42, v39, v48
	v_mov_b32_e32 v39, v40
	v_mul_f32_e32 v43, 0x3ee437d1, v61
	v_fmac_f32_e32 v39, 0x3f06c442, v49
	v_mov_b32_e32 v44, v43
	v_add_f32_e32 v39, v29, v39
	v_fmac_f32_e32 v44, 0xbf65296c, v58
	v_add_f32_e32 v39, v39, v44
	v_mul_f32_e32 v44, 0x3dbcf732, v63
	v_mov_b32_e32 v45, v44
	v_fmac_f32_e32 v45, 0x3f7ee86f, v57
	v_add_f32_e32 v39, v39, v45
	v_mul_f32_e32 v45, 0xbf1a4643, v64
	v_mov_b32_e32 v46, v45
	v_fmac_f32_e32 v46, 0xbf4c4adb, v56
	v_add_f32_e32 v39, v39, v46
	v_mul_f32_e32 v46, 0x3f6eb680, v65
	v_mov_b32_e32 v47, v46
	v_fmac_f32_e32 v47, 0x3eb8f4ab, v55
	v_add_f32_e32 v39, v39, v47
	v_mul_f32_e32 v47, 0xbf7ba420, v66
	v_fmac_f32_e32 v40, 0xbf06c442, v49
	v_mov_b32_e32 v48, v47
	v_add_f32_e32 v40, v29, v40
	v_fmac_f32_e32 v43, 0x3f65296c, v58
	v_fmac_f32_e32 v48, 0x3e3c28d5, v54
	v_add_f32_e32 v40, v40, v43
	v_fmac_f32_e32 v44, 0xbf7ee86f, v57
	v_add_f32_e32 v39, v39, v48
	v_mul_f32_e32 v48, 0x3f3d2fb0, v67
	v_add_f32_e32 v40, v40, v44
	v_fmac_f32_e32 v45, 0x3f4c4adb, v56
	v_mov_b32_e32 v59, v48
	v_add_f32_e32 v40, v40, v45
	v_fmac_f32_e32 v46, 0xbeb8f4ab, v55
	v_fmac_f32_e32 v59, 0xbf2c7751, v53
	v_add_f32_e32 v40, v40, v46
	v_fmac_f32_e32 v47, 0xbe3c28d5, v54
	v_add_f32_e32 v39, v39, v59
	v_mul_f32_e32 v59, 0xbe8c1d8e, v68
	v_add_f32_e32 v40, v40, v47
	v_fmac_f32_e32 v48, 0x3f2c7751, v53
	v_mov_b32_e32 v62, v59
	v_add_f32_e32 v40, v40, v48
	v_fmac_f32_e32 v59, 0xbf763a35, v50
	v_mul_f32_e32 v43, 0xbf1a4643, v60
	v_add_f32_e32 v45, v40, v59
	v_mov_b32_e32 v40, v43
	v_mul_f32_e32 v44, 0xbe8c1d8e, v61
	v_fmac_f32_e32 v40, 0x3f4c4adb, v49
	v_mov_b32_e32 v46, v44
	v_add_f32_e32 v40, v29, v40
	v_fmac_f32_e32 v46, 0xbf763a35, v58
	v_add_f32_e32 v40, v40, v46
	v_mul_f32_e32 v46, 0x3f6eb680, v63
	v_mov_b32_e32 v47, v46
	v_fmac_f32_e32 v47, 0x3eb8f4ab, v57
	v_add_f32_e32 v40, v40, v47
	v_mul_f32_e32 v47, 0xbf59a7d5, v64
	v_mov_b32_e32 v48, v47
	v_fmac_f32_e32 v48, 0x3f06c442, v56
	v_add_f32_e32 v40, v40, v48
	v_mul_f32_e32 v48, 0x3dbcf732, v65
	v_mov_b32_e32 v59, v48
	v_fmac_f32_e32 v59, 0xbf7ee86f, v55
	v_fmac_f32_e32 v62, 0x3f763a35, v50
	v_add_f32_e32 v40, v40, v59
	v_mul_f32_e32 v59, 0x3f3d2fb0, v66
	v_fmac_f32_e32 v43, 0xbf4c4adb, v49
	v_add_f32_e32 v39, v39, v62
	v_mov_b32_e32 v62, v59
	v_add_f32_e32 v43, v29, v43
	v_fmac_f32_e32 v44, 0x3f763a35, v58
	v_fmac_f32_e32 v62, 0x3f2c7751, v54
	v_add_f32_e32 v43, v43, v44
	v_fmac_f32_e32 v46, 0xbeb8f4ab, v57
	v_add_f32_e32 v40, v40, v62
	v_mul_f32_e32 v62, 0xbf7ba420, v67
	v_add_f32_e32 v43, v43, v46
	v_fmac_f32_e32 v47, 0xbf06c442, v56
	v_mov_b32_e32 v69, v62
	v_add_f32_e32 v43, v43, v47
	v_fmac_f32_e32 v48, 0x3f7ee86f, v55
	v_fmac_f32_e32 v69, 0x3e3c28d5, v53
	v_add_f32_e32 v43, v43, v48
	v_fmac_f32_e32 v59, 0xbf2c7751, v54
	v_add_f32_e32 v40, v40, v69
	v_mul_f32_e32 v69, 0x3ee437d1, v68
	v_add_f32_e32 v43, v43, v59
	v_fmac_f32_e32 v62, 0xbe3c28d5, v53
	v_mov_b32_e32 v70, v69
	v_add_f32_e32 v43, v43, v62
	v_fmac_f32_e32 v69, 0x3f65296c, v50
	v_mul_f32_e32 v44, 0xbe8c1d8e, v60
	v_add_f32_e32 v47, v43, v69
	v_mov_b32_e32 v43, v44
	v_mul_f32_e32 v46, 0xbf59a7d5, v61
	v_fmac_f32_e32 v43, 0x3f763a35, v49
	v_mov_b32_e32 v48, v46
	v_add_f32_e32 v43, v29, v43
	v_fmac_f32_e32 v48, 0xbf06c442, v58
	v_add_f32_e32 v43, v43, v48
	v_mul_f32_e32 v48, 0x3f3d2fb0, v63
	v_mov_b32_e32 v59, v48
	v_fmac_f32_e32 v59, 0xbf2c7751, v57
	v_add_f32_e32 v43, v43, v59
	v_mul_f32_e32 v59, 0x3ee437d1, v64
	v_mov_b32_e32 v62, v59
	v_fmac_f32_e32 v62, 0x3f65296c, v56
	v_add_f32_e32 v43, v43, v62
	v_mul_f32_e32 v62, 0xbf7ba420, v65
	v_mov_b32_e32 v69, v62
	v_fmac_f32_e32 v69, 0x3e3c28d5, v55
	v_fmac_f32_e32 v70, 0xbf65296c, v50
	v_add_f32_e32 v43, v43, v69
	v_mul_f32_e32 v69, 0x3dbcf732, v66
	v_fmac_f32_e32 v44, 0xbf763a35, v49
	v_add_f32_e32 v40, v40, v70
	;; [unrolled: 48-line block ×4, first 2 shown]
	v_mov_b32_e32 v74, v73
	v_add_f32_e32 v48, v29, v48
	v_fmac_f32_e32 v69, 0xbf4c4adb, v58
	v_fmac_f32_e32 v74, 0x3eb8f4ab, v54
	v_add_f32_e32 v48, v48, v69
	v_fmac_f32_e32 v70, 0x3e3c28d5, v57
	v_add_f32_e32 v46, v46, v74
	v_mul_f32_e32 v74, 0x3dbcf732, v67
	v_add_f32_e32 v48, v48, v70
	v_fmac_f32_e32 v71, 0x3f763a35, v56
	v_mov_b32_e32 v75, v74
	v_add_f32_e32 v48, v48, v71
	v_fmac_f32_e32 v72, 0x3f2c7751, v55
	v_fmac_f32_e32 v75, 0x3f7ee86f, v53
	v_add_f32_e32 v48, v48, v72
	v_fmac_f32_e32 v73, 0xbeb8f4ab, v54
	v_add_f32_e32 v46, v46, v75
	v_mul_f32_e32 v75, 0xbf59a7d5, v68
	v_add_f32_e32 v48, v48, v73
	v_fmac_f32_e32 v74, 0xbf7ee86f, v53
	v_mov_b32_e32 v76, v75
	v_add_f32_e32 v48, v48, v74
	v_fmac_f32_e32 v75, 0xbf06c442, v50
	v_mul_f32_e32 v70, 0x3f3d2fb0, v60
	v_add_f32_e32 v69, v48, v75
	v_mov_b32_e32 v48, v70
	v_mul_f32_e32 v71, 0x3dbcf732, v61
	v_fmac_f32_e32 v48, 0x3f2c7751, v49
	v_mov_b32_e32 v72, v71
	v_add_f32_e32 v48, v29, v48
	v_fmac_f32_e32 v72, 0x3f7ee86f, v58
	v_fmac_f32_e32 v70, 0xbf2c7751, v49
	v_add_f32_e32 v48, v48, v72
	v_mul_f32_e32 v72, 0xbf1a4643, v63
	v_add_f32_e32 v70, v29, v70
	v_fmac_f32_e32 v71, 0xbf7ee86f, v58
	v_mul_f32_e32 v60, 0x3f6eb680, v60
	v_mov_b32_e32 v73, v72
	v_add_f32_e32 v70, v70, v71
	v_mov_b32_e32 v71, v60
	v_fmac_f32_e32 v73, 0x3f4c4adb, v57
	v_fmac_f32_e32 v71, 0x3eb8f4ab, v49
	;; [unrolled: 1-line block ×3, first 2 shown]
	v_add_f32_e32 v48, v48, v73
	v_mul_f32_e32 v73, 0xbf7ba420, v64
	v_fmac_f32_e32 v72, 0xbf4c4adb, v57
	v_add_f32_e32 v71, v29, v71
	v_mul_f32_e32 v61, 0x3f3d2fb0, v61
	v_add_f32_e32 v49, v29, v60
	v_add_f32_e32 v29, v29, v35
	v_mov_b32_e32 v74, v73
	v_add_f32_e32 v70, v70, v72
	v_mov_b32_e32 v72, v61
	v_add_f32_e32 v29, v29, v31
	v_fmac_f32_e32 v74, 0x3e3c28d5, v56
	v_fmac_f32_e32 v72, 0x3f2c7751, v58
	v_mul_f32_e32 v63, 0x3ee437d1, v63
	v_add_f32_e32 v29, v29, v25
	v_add_f32_e32 v48, v48, v74
	v_mul_f32_e32 v74, 0xbf59a7d5, v65
	v_add_f32_e32 v71, v71, v72
	v_mov_b32_e32 v72, v63
	v_add_f32_e32 v29, v29, v23
	v_mov_b32_e32 v75, v74
	v_fmac_f32_e32 v72, 0x3f65296c, v57
	v_mul_f32_e32 v64, 0x3dbcf732, v64
	v_add_f32_e32 v29, v29, v17
	v_fmac_f32_e32 v75, 0xbf06c442, v55
	v_add_f32_e32 v71, v71, v72
	v_mov_b32_e32 v72, v64
	v_add_f32_e32 v29, v29, v13
	v_fmac_f32_e32 v76, 0x3f06c442, v50
	v_add_f32_e32 v48, v48, v75
	v_mul_f32_e32 v75, 0xbe8c1d8e, v66
	v_fmac_f32_e32 v72, 0x3f7ee86f, v56
	v_mul_f32_e32 v65, 0xbe8c1d8e, v65
	v_add_f32_e32 v29, v29, v9
	v_add_f32_e32 v46, v46, v76
	v_mov_b32_e32 v76, v75
	v_add_f32_e32 v71, v71, v72
	v_mov_b32_e32 v72, v65
	v_add_f32_e32 v29, v29, v5
	v_fmac_f32_e32 v76, 0xbf763a35, v54
	v_fmac_f32_e32 v72, 0x3f763a35, v55
	v_mul_f32_e32 v66, 0xbf1a4643, v66
	v_fmac_f32_e32 v61, 0xbf2c7751, v58
	v_add_f32_e32 v29, v29, v7
	v_add_f32_e32 v48, v48, v76
	v_mul_f32_e32 v76, 0x3ee437d1, v67
	v_add_f32_e32 v71, v71, v72
	v_mov_b32_e32 v72, v66
	v_add_f32_e32 v49, v49, v61
	v_fmac_f32_e32 v63, 0xbf65296c, v57
	v_add_f32_e32 v29, v11, v29
	v_mov_b32_e32 v77, v76
	v_fmac_f32_e32 v72, 0x3f4c4adb, v54
	v_mul_f32_e32 v67, 0xbf59a7d5, v67
	v_add_f32_e32 v49, v49, v63
	v_fmac_f32_e32 v64, 0xbf7ee86f, v56
	v_add_f32_e32 v29, v15, v29
	v_fmac_f32_e32 v77, 0xbf65296c, v53
	v_fmac_f32_e32 v73, 0xbe3c28d5, v56
	v_add_f32_e32 v71, v71, v72
	v_mov_b32_e32 v72, v67
	v_add_f32_e32 v49, v49, v64
	v_fmac_f32_e32 v65, 0xbf763a35, v55
	v_add_f32_e32 v29, v19, v29
	v_add_f32_e32 v48, v48, v77
	v_mul_f32_e32 v77, 0x3f6eb680, v68
	v_add_f32_e32 v70, v70, v73
	v_fmac_f32_e32 v74, 0x3f06c442, v55
	v_fmac_f32_e32 v72, 0x3f06c442, v53
	v_mul_f32_e32 v68, 0xbf7ba420, v68
	v_add_f32_e32 v49, v49, v65
	v_fmac_f32_e32 v66, 0xbf4c4adb, v54
	v_add_f32_e32 v29, v21, v29
	v_mov_b32_e32 v78, v77
	v_add_f32_e32 v70, v70, v74
	v_fmac_f32_e32 v75, 0x3f763a35, v54
	v_add_f32_e32 v71, v71, v72
	v_mov_b32_e32 v72, v68
	v_add_f32_e32 v49, v49, v66
	v_fmac_f32_e32 v67, 0xbf06c442, v53
	v_add_f32_e32 v29, v27, v29
	v_fmac_f32_e32 v78, 0xbeb8f4ab, v50
	v_add_f32_e32 v70, v70, v75
	v_fmac_f32_e32 v76, 0x3f65296c, v53
	v_fmac_f32_e32 v77, 0x3eb8f4ab, v50
	v_fmac_f32_e32 v72, 0x3e3c28d5, v50
	v_add_f32_e32 v49, v49, v67
	v_fmac_f32_e32 v68, 0xbe3c28d5, v50
	v_add_f32_e32 v29, v33, v29
	v_mul_u32_u24_e32 v50, 0x44, v51
	v_add_f32_e32 v70, v70, v76
	v_add_f32_e32 v49, v49, v68
	;; [unrolled: 1-line block ×3, first 2 shown]
	v_add3_u32 v50, 0, v50, v52
	v_add_f32_e32 v48, v48, v78
	v_add_f32_e32 v70, v70, v77
	;; [unrolled: 1-line block ×3, first 2 shown]
	ds_write2_b32 v50, v29, v49 offset1:1
	ds_write2_b32 v50, v70, v69 offset0:2 offset1:3
	ds_write2_b32 v50, v62, v59 offset0:4 offset1:5
	;; [unrolled: 1-line block ×7, first 2 shown]
	ds_write_b32 v50, v71 offset:64
.LBB0_14:
	s_or_b64 exec, exec, s[6:7]
	v_lshlrev_b32_e32 v39, 2, v51
	v_add_u32_e32 v55, 0, v39
	v_add3_u32 v54, 0, v52, v39
	v_add_u32_e32 v53, v55, v52
	s_waitcnt vmcnt(0) lgkmcnt(0)
	s_barrier
	ds_read_b32 v29, v54
	ds_read2_b32 v[47:48], v53 offset0:17 offset1:34
	ds_read2_b32 v[43:44], v53 offset0:51 offset1:68
	;; [unrolled: 1-line block ×6, first 2 shown]
	s_waitcnt lgkmcnt(0)
	s_barrier
	s_and_saveexec_b64 s[6:7], s[0:1]
	s_cbranch_execz .LBB0_16
; %bb.15:
	v_add_f32_e32 v56, v30, v36
	v_add_f32_e32 v56, v56, v32
	;; [unrolled: 1-line block ×14, first 2 shown]
	v_sub_f32_e32 v35, v35, v37
	v_add_f32_e32 v56, v34, v56
	v_add_f32_e32 v36, v36, v38
	v_mul_f32_e32 v37, 0xbeb8f4ab, v35
	s_mov_b32 s14, 0x3f6eb680
	v_mul_f32_e32 v57, 0xbf2c7751, v35
	s_mov_b32 s8, 0x3f3d2fb0
	;; [unrolled: 2-line block ×8, first 2 shown]
	v_sub_f32_e32 v31, v31, v33
	v_add_f32_e32 v56, v38, v56
	v_fma_f32 v38, v36, s14, -v37
	v_fmac_f32_e32 v37, 0x3f6eb680, v36
	v_fma_f32 v58, v36, s8, -v57
	v_fmac_f32_e32 v57, 0x3f3d2fb0, v36
	;; [unrolled: 2-line block ×8, first 2 shown]
	v_add_f32_e32 v32, v32, v34
	v_mul_f32_e32 v33, 0xbf2c7751, v31
	v_add_f32_e32 v38, v30, v38
	v_add_f32_e32 v37, v30, v37
	;; [unrolled: 1-line block ×16, first 2 shown]
	v_fma_f32 v34, v32, s8, -v33
	v_fmac_f32_e32 v33, 0x3f3d2fb0, v32
	v_mul_f32_e32 v35, 0xbf7ee86f, v31
	v_add_f32_e32 v33, v37, v33
	v_fma_f32 v36, v32, s0, -v35
	v_fmac_f32_e32 v35, 0x3dbcf732, v32
	v_mul_f32_e32 v37, 0xbf4c4adb, v31
	v_add_f32_e32 v34, v38, v34
	v_add_f32_e32 v35, v57, v35
	v_fma_f32 v38, v32, s15, -v37
	v_fmac_f32_e32 v37, 0xbf1a4643, v32
	v_mul_f32_e32 v57, 0xbe3c28d5, v31
	v_add_f32_e32 v36, v58, v36
	;; [unrolled: 5-line block ×4, first 2 shown]
	v_add_f32_e32 v59, v63, v59
	v_fma_f32 v62, v32, s9, -v61
	v_fmac_f32_e32 v61, 0xbe8c1d8e, v32
	v_mul_f32_e32 v63, 0x3f65296c, v31
	v_mul_f32_e32 v31, 0x3eb8f4ab, v31
	v_sub_f32_e32 v25, v25, v27
	v_add_f32_e32 v61, v65, v61
	v_fma_f32 v65, v32, s14, -v31
	v_fmac_f32_e32 v31, 0x3f6eb680, v32
	v_add_f32_e32 v26, v26, v28
	v_mul_f32_e32 v27, 0xbf65296c, v25
	v_add_f32_e32 v30, v30, v31
	v_fma_f32 v28, v26, s1, -v27
	v_fmac_f32_e32 v27, 0x3ee437d1, v26
	v_mul_f32_e32 v31, 0xbf4c4adb, v25
	v_add_f32_e32 v60, v64, v60
	v_fma_f32 v64, v32, s1, -v63
	v_fmac_f32_e32 v63, 0x3ee437d1, v32
	v_add_f32_e32 v27, v33, v27
	v_fma_f32 v32, v26, s15, -v31
	v_fmac_f32_e32 v31, 0xbf1a4643, v26
	v_mul_f32_e32 v33, 0x3e3c28d5, v25
	v_add_f32_e32 v28, v34, v28
	v_add_f32_e32 v31, v35, v31
	v_fma_f32 v34, v26, s17, -v33
	v_fmac_f32_e32 v33, 0xbf7ba420, v26
	v_mul_f32_e32 v35, 0x3f763a35, v25
	v_add_f32_e32 v32, v36, v32
	v_add_f32_e32 v33, v37, v33
	v_fma_f32 v36, v26, s9, -v35
	v_fmac_f32_e32 v35, 0xbe8c1d8e, v26
	v_mul_f32_e32 v37, 0x3f2c7751, v25
	v_add_f32_e32 v34, v38, v34
	v_add_f32_e32 v35, v57, v35
	v_fma_f32 v38, v26, s8, -v37
	v_fmac_f32_e32 v37, 0x3f3d2fb0, v26
	v_mul_f32_e32 v57, 0xbeb8f4ab, v25
	v_sub_f32_e32 v21, v23, v21
	v_add_f32_e32 v36, v58, v36
	v_add_f32_e32 v37, v59, v37
	v_fma_f32 v58, v26, s14, -v57
	v_fmac_f32_e32 v57, 0x3f6eb680, v26
	v_mul_f32_e32 v59, 0xbf7ee86f, v25
	v_mul_f32_e32 v25, 0xbf06c442, v25
	v_add_f32_e32 v22, v24, v22
	v_mul_f32_e32 v23, 0xbf7ee86f, v21
	v_add_f32_e32 v38, v60, v38
	v_add_f32_e32 v57, v61, v57
	v_fma_f32 v60, v26, s0, -v59
	v_fmac_f32_e32 v59, 0x3dbcf732, v26
	v_fma_f32 v61, v26, s16, -v25
	v_fmac_f32_e32 v25, 0xbf59a7d5, v26
	v_fma_f32 v24, v22, s0, -v23
	v_fmac_f32_e32 v23, 0x3dbcf732, v22
	v_mul_f32_e32 v26, 0xbe3c28d5, v21
	v_add_f32_e32 v24, v28, v24
	v_add_f32_e32 v23, v27, v23
	v_fma_f32 v27, v22, s17, -v26
	v_fmac_f32_e32 v26, 0xbf7ba420, v22
	v_mul_f32_e32 v28, 0x3f763a35, v21
	v_add_f32_e32 v25, v30, v25
	v_add_f32_e32 v26, v31, v26
	v_fma_f32 v30, v22, s9, -v28
	v_fmac_f32_e32 v28, 0xbe8c1d8e, v22
	v_mul_f32_e32 v31, 0x3eb8f4ab, v21
	v_add_f32_e32 v27, v32, v27
	v_add_f32_e32 v28, v33, v28
	v_fma_f32 v32, v22, s14, -v31
	v_fmac_f32_e32 v31, 0x3f6eb680, v22
	v_mul_f32_e32 v33, 0xbf65296c, v21
	v_add_f32_e32 v30, v34, v30
	v_add_f32_e32 v31, v35, v31
	v_fma_f32 v34, v22, s1, -v33
	v_fmac_f32_e32 v33, 0x3ee437d1, v22
	v_mul_f32_e32 v35, 0xbf06c442, v21
	v_sub_f32_e32 v17, v17, v19
	v_add_f32_e32 v32, v36, v32
	v_add_f32_e32 v33, v37, v33
	v_fma_f32 v36, v22, s16, -v35
	v_fmac_f32_e32 v35, 0xbf59a7d5, v22
	v_mul_f32_e32 v37, 0x3f4c4adb, v21
	v_mul_f32_e32 v21, 0x3f2c7751, v21
	v_add_f32_e32 v18, v18, v20
	v_mul_f32_e32 v19, 0xbf763a35, v17
	v_add_f32_e32 v34, v38, v34
	v_add_f32_e32 v35, v57, v35
	v_fma_f32 v38, v22, s15, -v37
	v_fmac_f32_e32 v37, 0xbf1a4643, v22
	v_fma_f32 v57, v22, s8, -v21
	v_fmac_f32_e32 v21, 0x3f3d2fb0, v22
	v_fma_f32 v20, v18, s9, -v19
	v_fmac_f32_e32 v19, 0xbe8c1d8e, v18
	v_mul_f32_e32 v22, 0x3f06c442, v17
	v_add_f32_e32 v20, v24, v20
	;; [unrolled: 38-line block ×5, first 2 shown]
	v_add_f32_e32 v7, v11, v7
	v_fma_f32 v11, v6, s14, -v10
	v_fmac_f32_e32 v10, 0x3f6eb680, v6
	v_mul_f32_e32 v12, 0xbf06c442, v5
	v_add_f32_e32 v62, v66, v62
	v_add_f32_e32 v64, v68, v64
	v_add_f32_e32 v63, v67, v63
	v_add_f32_e32 v65, v69, v65
	v_add_f32_e32 v9, v13, v9
	v_add_f32_e32 v10, v14, v10
	v_fma_f32 v13, v6, s16, -v12
	v_fmac_f32_e32 v12, 0xbf59a7d5, v6
	v_mul_f32_e32 v14, 0x3f2c7751, v5
	v_add_f32_e32 v58, v62, v58
	v_add_f32_e32 v60, v64, v60
	v_add_f32_e32 v59, v63, v59
	v_add_f32_e32 v61, v65, v61
	v_add_f32_e32 v11, v15, v11
	;; [unrolled: 9-line block ×4, first 2 shown]
	v_add_f32_e32 v16, v20, v16
	v_fma_f32 v19, v6, s1, -v18
	v_fmac_f32_e32 v18, 0x3ee437d1, v6
	v_mul_f32_e32 v20, 0xbf763a35, v5
	v_mul_f32_e32 v5, 0x3f7ee86f, v5
	v_add_f32_e32 v27, v32, v27
	v_add_f32_e32 v30, v34, v30
	;; [unrolled: 1-line block ×6, first 2 shown]
	v_fma_f32 v21, v6, s9, -v20
	v_fmac_f32_e32 v20, 0xbe8c1d8e, v6
	v_fma_f32 v22, v6, s0, -v5
	v_fmac_f32_e32 v5, 0x3dbcf732, v6
	v_lshlrev_b32_e32 v6, 6, v51
	v_add_f32_e32 v23, v27, v23
	v_add_f32_e32 v25, v30, v25
	;; [unrolled: 1-line block ×4, first 2 shown]
	v_add3_u32 v6, v55, v6, v52
	v_add_f32_e32 v19, v23, v19
	v_add_f32_e32 v21, v25, v21
	v_add_f32_e32 v20, v24, v20
	v_add_f32_e32 v22, v26, v22
	v_add_f32_e32 v5, v9, v5
	ds_write2_b32 v6, v56, v8 offset1:1
	ds_write2_b32 v6, v11, v13 offset0:2 offset1:3
	ds_write2_b32 v6, v15, v17 offset0:4 offset1:5
	;; [unrolled: 1-line block ×7, first 2 shown]
	ds_write_b32 v6, v7 offset:64
.LBB0_16:
	s_or_b64 exec, exec, s[6:7]
	s_waitcnt lgkmcnt(0)
	s_barrier
	s_and_saveexec_b64 s[0:1], vcc
	s_cbranch_execz .LBB0_18
; %bb.17:
	v_mul_u32_u24_e32 v5, 12, v51
	v_lshlrev_b32_e32 v5, 3, v5
	global_load_dwordx4 v[7:10], v5, s[12:13]
	global_load_dwordx4 v[12:15], v5, s[12:13] offset:80
	global_load_dwordx4 v[16:19], v5, s[12:13] offset:16
	;; [unrolled: 1-line block ×5, first 2 shown]
	v_mul_lo_u32 v28, s5, v3
	v_mul_lo_u32 v38, s4, v4
	v_mad_u64_u32 v[5:6], s[0:1], s4, v3, 0
	ds_read2_b32 v[3:4], v53 offset0:17 offset1:34
	ds_read2_b32 v[34:35], v53 offset0:187 offset1:204
	ds_read_b32 v11, v54
	ds_read2_b32 v[36:37], v53 offset0:51 offset1:68
	ds_read2_b32 v[51:52], v53 offset0:153 offset1:170
	ds_read2_b32 v[54:55], v53 offset0:85 offset1:102
	ds_read2_b32 v[56:57], v53 offset0:119 offset1:136
	v_add3_u32 v6, v6, v38, v28
	s_mov_b32 s0, 0xbf3f9e67
	s_mov_b32 s1, 0x3df6dbef
	s_mov_b32 s4, 0x3f116cb1
	s_mov_b32 s5, 0xbf788fa5
	s_mov_b32 s6, 0x3f62ad3f
	s_mov_b32 s7, 0xbeb58ec6
	v_lshlrev_b64 v[5:6], 3, v[5:6]
	v_lshlrev_b64 v[1:2], 3, v[1:2]
	v_add_co_u32_e32 v5, vcc, s10, v5
	s_waitcnt vmcnt(5)
	v_mul_f32_e32 v28, v47, v7
	s_waitcnt vmcnt(4)
	v_mul_f32_e32 v38, v50, v14
	v_mul_f32_e32 v53, v48, v9
	;; [unrolled: 1-line block ×3, first 2 shown]
	s_waitcnt vmcnt(3)
	v_mul_f32_e32 v59, v43, v16
	v_mul_f32_e32 v43, v43, v17
	s_waitcnt lgkmcnt(6)
	v_fmac_f32_e32 v28, v3, v8
	s_waitcnt lgkmcnt(5)
	v_fmac_f32_e32 v38, v35, v15
	v_mul_f32_e32 v50, v50, v15
	v_mul_f32_e32 v47, v47, v8
	s_waitcnt vmcnt(2)
	v_mul_f32_e32 v60, v46, v22
	v_fmac_f32_e32 v53, v4, v10
	v_fmac_f32_e32 v58, v34, v13
	s_waitcnt lgkmcnt(3)
	v_fmac_f32_e32 v59, v36, v17
	v_fma_f32 v36, v36, v16, -v43
	v_sub_f32_e32 v16, v28, v38
	v_mul_f32_e32 v49, v49, v13
	v_mul_f32_e32 v48, v48, v10
	;; [unrolled: 1-line block ×5, first 2 shown]
	s_waitcnt vmcnt(1)
	v_mul_f32_e32 v63, v39, v24
	v_fma_f32 v35, v35, v14, -v50
	v_fma_f32 v47, v3, v7, -v47
	s_waitcnt lgkmcnt(2)
	v_fmac_f32_e32 v60, v52, v23
	v_sub_f32_e32 v15, v53, v58
	v_mul_f32_e32 v17, 0xbf29c268, v16
	v_mul_f32_e32 v46, v46, v23
	s_waitcnt vmcnt(0)
	v_mul_f32_e32 v64, v42, v32
	v_mul_f32_e32 v39, v39, v25
	v_fma_f32 v34, v34, v12, -v49
	v_fma_f32 v48, v4, v9, -v48
	v_fmac_f32_e32 v61, v37, v19
	v_fmac_f32_e32 v62, v51, v21
	v_fma_f32 v37, v37, v18, -v44
	s_waitcnt lgkmcnt(1)
	v_fmac_f32_e32 v63, v54, v25
	v_add_f32_e32 v25, v47, v35
	v_sub_f32_e32 v14, v59, v60
	v_mul_f32_e32 v18, 0x3f7e222b, v15
	v_mov_b32_e32 v3, v17
	v_mul_f32_e32 v45, v45, v21
	v_mul_f32_e32 v42, v42, v33
	v_fma_f32 v46, v52, v22, -v46
	s_waitcnt lgkmcnt(0)
	v_fmac_f32_e32 v64, v57, v33
	v_fma_f32 v33, v54, v24, -v39
	v_add_f32_e32 v39, v48, v34
	v_sub_f32_e32 v13, v61, v62
	v_mul_f32_e32 v19, 0xbf52af12, v14
	v_mov_b32_e32 v4, v18
	v_fmac_f32_e32 v3, 0xbf3f9e67, v25
	v_fma_f32 v43, v51, v20, -v45
	v_fma_f32 v32, v57, v32, -v42
	v_add_f32_e32 v42, v36, v46
	v_sub_f32_e32 v12, v63, v64
	v_mul_f32_e32 v20, 0x3e750f2a, v13
	v_mov_b32_e32 v7, v19
	v_fmac_f32_e32 v4, 0x3df6dbef, v39
	v_add_f32_e32 v3, v11, v3
	v_add_f32_e32 v44, v37, v43
	v_mul_f32_e32 v21, 0x3eedf032, v12
	v_mov_b32_e32 v8, v20
	v_fmac_f32_e32 v7, 0x3f116cb1, v42
	v_add_f32_e32 v3, v3, v4
	v_add_f32_e32 v45, v33, v32
	v_fmac_f32_e32 v8, 0xbf788fa5, v44
	v_add_f32_e32 v3, v3, v7
	v_mov_b32_e32 v4, v21
	v_add_f32_e32 v3, v3, v8
	v_fmac_f32_e32 v4, 0x3f62ad3f, v45
	v_mul_f32_e32 v49, v40, v26
	v_mul_f32_e32 v50, v41, v30
	v_add_f32_e32 v3, v3, v4
	v_fmac_f32_e32 v49, v55, v27
	v_fmac_f32_e32 v50, v56, v31
	v_mul_f32_e32 v4, v41, v31
	v_sub_f32_e32 v51, v49, v50
	v_fma_f32 v30, v56, v30, -v4
	v_mul_f32_e32 v4, v40, v27
	v_mul_f32_e32 v22, 0xbf6f5d39, v51
	v_fma_f32 v27, v55, v26, -v4
	v_add_f32_e32 v26, v27, v30
	v_mov_b32_e32 v4, v22
	v_sub_f32_e32 v31, v47, v35
	v_fmac_f32_e32 v4, 0xbeb58ec6, v26
	v_add_f32_e32 v40, v28, v38
	v_mul_f32_e32 v23, 0xbf29c268, v31
	v_sub_f32_e32 v52, v48, v34
	v_add_f32_e32 v4, v3, v4
	v_fma_f32 v3, v40, s0, -v23
	v_add_f32_e32 v41, v53, v58
	v_mul_f32_e32 v24, 0x3f7e222b, v52
	v_sub_f32_e32 v55, v36, v46
	v_add_f32_e32 v3, v29, v3
	v_fma_f32 v7, v41, s1, -v24
	;; [unrolled: 5-line block ×5, first 2 shown]
	v_add_f32_e32 v70, v49, v50
	v_mul_f32_e32 v72, 0xbf6f5d39, v71
	v_add_f32_e32 v3, v3, v7
	v_fma_f32 v7, v70, s7, -v72
	v_mul_f32_e32 v9, 0xbe750f2a, v16
	v_add_f32_e32 v3, v3, v7
	v_mov_b32_e32 v7, v9
	v_mul_f32_e32 v10, 0x3eedf032, v15
	v_fmac_f32_e32 v7, 0xbf788fa5, v25
	v_mov_b32_e32 v8, v10
	v_add_f32_e32 v7, v11, v7
	v_fmac_f32_e32 v8, 0x3f62ad3f, v39
	v_mul_f32_e32 v73, 0xbf29c268, v14
	v_add_f32_e32 v7, v7, v8
	v_mov_b32_e32 v8, v73
	v_fmac_f32_e32 v8, 0xbf3f9e67, v42
	v_mul_f32_e32 v74, 0x3f52af12, v13
	v_add_f32_e32 v7, v7, v8
	v_mov_b32_e32 v8, v74
	v_fma_f32 v17, v25, s0, -v17
	v_fmac_f32_e32 v8, 0x3f116cb1, v44
	v_mul_f32_e32 v75, 0xbf6f5d39, v12
	v_add_f32_e32 v17, v11, v17
	v_fma_f32 v18, v39, s1, -v18
	v_add_f32_e32 v7, v7, v8
	v_mov_b32_e32 v8, v75
	v_add_f32_e32 v17, v17, v18
	v_fma_f32 v18, v42, s4, -v19
	v_fmac_f32_e32 v8, 0xbeb58ec6, v45
	v_mul_f32_e32 v76, 0xbe750f2a, v31
	v_add_f32_e32 v17, v17, v18
	v_fma_f32 v18, v44, s5, -v20
	v_add_f32_e32 v7, v7, v8
	v_fma_f32 v8, v40, s5, -v76
	v_mul_f32_e32 v77, 0x3eedf032, v52
	v_add_f32_e32 v17, v17, v18
	v_fma_f32 v18, v45, s6, -v21
	v_add_f32_e32 v8, v29, v8
	v_fma_f32 v78, v41, s6, -v77
	v_fma_f32 v9, v25, s5, -v9
	v_add_f32_e32 v17, v17, v18
	v_fma_f32 v18, v26, s7, -v22
	v_fmac_f32_e32 v23, 0xbf3f9e67, v40
	v_add_f32_e32 v8, v8, v78
	v_mul_f32_e32 v78, 0xbf29c268, v55
	v_add_f32_e32 v9, v11, v9
	v_fma_f32 v10, v39, s6, -v10
	v_add_f32_e32 v18, v17, v18
	v_add_f32_e32 v17, v29, v23
	v_fmac_f32_e32 v24, 0x3df6dbef, v41
	v_fma_f32 v79, v54, s0, -v78
	v_add_f32_e32 v9, v9, v10
	v_fma_f32 v10, v42, s0, -v73
	v_add_f32_e32 v17, v17, v24
	v_fmac_f32_e32 v56, 0x3f116cb1, v54
	v_add_f32_e32 v8, v8, v79
	v_mul_f32_e32 v79, 0x3f52af12, v65
	v_add_f32_e32 v9, v9, v10
	v_fma_f32 v10, v44, s4, -v74
	v_add_f32_e32 v17, v17, v56
	v_fmac_f32_e32 v66, 0xbf788fa5, v57
	v_mul_f32_e32 v56, 0xbeb58ec6, v25
	v_fma_f32 v80, v57, s4, -v79
	v_add_f32_e32 v9, v9, v10
	v_fma_f32 v10, v45, s7, -v75
	v_fmac_f32_e32 v76, 0xbf788fa5, v40
	v_add_f32_e32 v17, v17, v66
	v_mov_b32_e32 v19, v56
	v_mul_f32_e32 v66, 0xbf3f9e67, v39
	v_add_f32_e32 v8, v8, v80
	v_mul_f32_e32 v80, 0xbf6f5d39, v68
	v_add_f32_e32 v9, v9, v10
	v_add_f32_e32 v10, v29, v76
	v_fmac_f32_e32 v77, 0x3f62ad3f, v41
	v_fmac_f32_e32 v69, 0x3f62ad3f, v67
	;; [unrolled: 1-line block ×3, first 2 shown]
	v_mov_b32_e32 v20, v66
	v_fma_f32 v81, v67, s7, -v80
	v_mul_f32_e32 v82, 0x3f7e222b, v51
	v_add_f32_e32 v10, v10, v77
	v_fmac_f32_e32 v78, 0xbf3f9e67, v54
	v_add_f32_e32 v17, v17, v69
	v_add_f32_e32 v19, v11, v19
	v_fmac_f32_e32 v20, 0xbf29c268, v15
	v_mul_f32_e32 v69, 0x3f62ad3f, v42
	v_add_f32_e32 v81, v8, v81
	v_mov_b32_e32 v8, v82
	v_add_f32_e32 v10, v10, v78
	v_fmac_f32_e32 v79, 0x3f116cb1, v57
	v_fmac_f32_e32 v72, 0xbeb58ec6, v70
	v_add_f32_e32 v19, v19, v20
	v_mov_b32_e32 v20, v69
	v_fmac_f32_e32 v8, 0x3df6dbef, v26
	v_mul_f32_e32 v83, 0x3f7e222b, v71
	v_add_f32_e32 v10, v10, v79
	v_fmac_f32_e32 v80, 0xbeb58ec6, v67
	v_add_f32_e32 v17, v17, v72
	v_fmac_f32_e32 v20, 0xbeedf032, v14
	v_mul_f32_e32 v72, 0x3df6dbef, v44
	v_add_f32_e32 v8, v7, v8
	v_fma_f32 v7, v70, s1, -v83
	v_add_f32_e32 v73, v10, v80
	v_fma_f32 v10, v26, s1, -v82
	v_fmac_f32_e32 v83, 0x3df6dbef, v70
	v_add_f32_e32 v19, v19, v20
	v_mov_b32_e32 v20, v72
	v_add_f32_e32 v10, v9, v10
	v_add_f32_e32 v9, v73, v83
	v_fmac_f32_e32 v20, 0x3f7e222b, v13
	v_mul_f32_e32 v73, 0xbf788fa5, v45
	v_add_f32_e32 v19, v19, v20
	v_mov_b32_e32 v20, v73
	v_fmac_f32_e32 v20, 0xbe750f2a, v12
	v_mul_f32_e32 v74, 0xbf6f5d39, v31
	v_add_f32_e32 v19, v19, v20
	v_mov_b32_e32 v20, v74
	v_mul_f32_e32 v75, 0x3f29c268, v52
	v_fmac_f32_e32 v20, 0xbeb58ec6, v40
	v_mov_b32_e32 v21, v75
	v_add_f32_e32 v20, v29, v20
	v_fmac_f32_e32 v21, 0xbf3f9e67, v41
	v_mul_f32_e32 v76, 0x3eedf032, v55
	v_add_f32_e32 v20, v20, v21
	v_mov_b32_e32 v21, v76
	v_fmac_f32_e32 v21, 0x3f62ad3f, v54
	v_mul_f32_e32 v77, 0xbf7e222b, v65
	v_add_f32_e32 v20, v20, v21
	v_mov_b32_e32 v21, v77
	;; [unrolled: 4-line block ×5, first 2 shown]
	v_add_f32_e32 v7, v81, v7
	v_fmac_f32_e32 v19, 0x3f116cb1, v70
	v_mul_f32_e32 v81, 0x3df6dbef, v25
	v_add_f32_e32 v19, v21, v19
	v_mov_b32_e32 v21, v81
	v_mul_f32_e32 v82, 0xbf788fa5, v39
	v_fmac_f32_e32 v21, 0x3f7e222b, v16
	v_mov_b32_e32 v22, v82
	v_add_f32_e32 v21, v11, v21
	v_fmac_f32_e32 v22, 0x3e750f2a, v15
	v_mul_f32_e32 v83, 0xbeb58ec6, v42
	v_add_f32_e32 v21, v21, v22
	v_mov_b32_e32 v22, v83
	v_fmac_f32_e32 v22, 0xbf6f5d39, v14
	v_mul_f32_e32 v84, 0x3f62ad3f, v44
	v_add_f32_e32 v21, v21, v22
	v_mov_b32_e32 v22, v84
	;; [unrolled: 4-line block ×4, first 2 shown]
	v_mul_f32_e32 v87, 0xbe750f2a, v52
	v_fmac_f32_e32 v22, 0x3df6dbef, v40
	v_mov_b32_e32 v23, v87
	v_add_f32_e32 v22, v29, v22
	v_fmac_f32_e32 v23, 0xbf788fa5, v41
	v_mul_f32_e32 v88, 0x3f6f5d39, v55
	v_add_f32_e32 v22, v22, v23
	v_mov_b32_e32 v23, v88
	v_fmac_f32_e32 v23, 0xbeb58ec6, v54
	v_mul_f32_e32 v89, 0x3eedf032, v65
	v_add_f32_e32 v22, v22, v23
	v_mov_b32_e32 v23, v89
	;; [unrolled: 4-line block ×6, first 2 shown]
	v_mul_f32_e32 v94, 0xbeb58ec6, v39
	v_fmac_f32_e32 v23, 0x3f52af12, v16
	v_mov_b32_e32 v24, v94
	v_add_f32_e32 v23, v11, v23
	v_fmac_f32_e32 v24, 0x3f6f5d39, v15
	v_mul_f32_e32 v95, 0xbf788fa5, v42
	v_add_f32_e32 v23, v23, v24
	v_mov_b32_e32 v24, v95
	v_fmac_f32_e32 v24, 0x3e750f2a, v14
	v_mul_f32_e32 v96, 0xbf3f9e67, v44
	v_add_f32_e32 v23, v23, v24
	v_mov_b32_e32 v24, v96
	;; [unrolled: 4-line block ×4, first 2 shown]
	v_mul_f32_e32 v99, 0xbf6f5d39, v52
	v_fmac_f32_e32 v24, 0x3f116cb1, v40
	v_mov_b32_e32 v100, v99
	v_add_f32_e32 v24, v29, v24
	v_fmac_f32_e32 v100, 0xbeb58ec6, v41
	v_add_f32_e32 v24, v24, v100
	v_mul_f32_e32 v100, 0xbe750f2a, v55
	v_mov_b32_e32 v101, v100
	v_fmac_f32_e32 v101, 0xbf788fa5, v54
	v_add_f32_e32 v24, v24, v101
	v_mul_f32_e32 v101, 0x3f29c268, v65
	v_mov_b32_e32 v102, v101
	;; [unrolled: 4-line block ×3, first 2 shown]
	v_fmac_f32_e32 v103, 0x3df6dbef, v67
	v_mul_f32_e32 v104, 0x3f62ad3f, v26
	v_add_f32_e32 v103, v24, v103
	v_mov_b32_e32 v24, v104
	v_fmac_f32_e32 v24, 0xbeedf032, v51
	v_mul_f32_e32 v105, 0x3eedf032, v71
	v_add_f32_e32 v24, v23, v24
	v_mov_b32_e32 v23, v105
	v_fmac_f32_e32 v23, 0x3f62ad3f, v70
	v_add_f32_e32 v23, v103, v23
	v_mul_f32_e32 v103, 0x3f62ad3f, v25
	v_mov_b32_e32 v25, v103
	v_mul_f32_e32 v39, 0x3f116cb1, v39
	v_fmac_f32_e32 v25, 0x3eedf032, v16
	v_mov_b32_e32 v106, v39
	v_add_f32_e32 v25, v11, v25
	v_fmac_f32_e32 v106, 0x3f52af12, v15
	v_mul_f32_e32 v42, 0x3df6dbef, v42
	v_add_f32_e32 v25, v25, v106
	v_mov_b32_e32 v106, v42
	v_fmac_f32_e32 v106, 0x3f7e222b, v14
	v_mul_f32_e32 v44, 0xbeb58ec6, v44
	v_add_f32_e32 v25, v25, v106
	v_mov_b32_e32 v106, v44
	;; [unrolled: 4-line block ×3, first 2 shown]
	v_fmac_f32_e32 v106, 0x3f29c268, v12
	v_add_f32_e32 v25, v25, v106
	v_mul_f32_e32 v106, 0xbeedf032, v31
	v_mov_b32_e32 v31, v106
	v_mul_f32_e32 v52, 0xbf52af12, v52
	v_fmac_f32_e32 v31, 0x3f62ad3f, v40
	v_mov_b32_e32 v107, v52
	v_add_f32_e32 v31, v29, v31
	v_fmac_f32_e32 v107, 0x3f116cb1, v41
	v_mul_f32_e32 v55, 0xbf7e222b, v55
	v_add_f32_e32 v31, v31, v107
	v_mov_b32_e32 v107, v55
	v_fmac_f32_e32 v107, 0x3df6dbef, v54
	v_mul_f32_e32 v65, 0xbf6f5d39, v65
	v_add_f32_e32 v31, v31, v107
	v_mov_b32_e32 v107, v65
	;; [unrolled: 4-line block ×3, first 2 shown]
	v_fmac_f32_e32 v107, 0xbf3f9e67, v67
	v_add_f32_e32 v31, v31, v107
	v_mul_f32_e32 v107, 0xbf788fa5, v26
	v_mov_b32_e32 v26, v107
	v_fmac_f32_e32 v26, 0x3e750f2a, v51
	v_mul_f32_e32 v71, 0xbe750f2a, v71
	v_add_f32_e32 v26, v25, v26
	v_mov_b32_e32 v25, v71
	v_fmac_f32_e32 v25, 0xbf788fa5, v70
	v_add_f32_e32 v25, v31, v25
	v_add_f32_e32 v31, v47, v11
	;; [unrolled: 1-line block ×23, first 2 shown]
	v_fmac_f32_e32 v56, 0xbf6f5d39, v16
	v_add_f32_e32 v28, v35, v27
	v_add_f32_e32 v27, v38, v30
	;; [unrolled: 1-line block ×3, first 2 shown]
	v_fmac_f32_e32 v66, 0x3f29c268, v15
	v_fma_f32 v31, v40, s7, -v74
	v_add_f32_e32 v30, v30, v66
	v_fmac_f32_e32 v69, 0x3eedf032, v14
	v_add_f32_e32 v31, v29, v31
	v_fma_f32 v32, v41, s0, -v75
	v_add_f32_e32 v30, v30, v69
	v_fmac_f32_e32 v72, 0xbf7e222b, v13
	v_add_f32_e32 v31, v31, v32
	;; [unrolled: 4-line block ×3, first 2 shown]
	v_fma_f32 v32, v57, s1, -v77
	v_add_f32_e32 v30, v30, v73
	v_add_f32_e32 v31, v31, v32
	v_fma_f32 v32, v67, s5, -v78
	v_fmac_f32_e32 v79, 0x3f52af12, v51
	v_add_f32_e32 v32, v31, v32
	v_add_f32_e32 v31, v30, v79
	v_fma_f32 v30, v70, s4, -v80
	v_fmac_f32_e32 v81, 0xbf7e222b, v16
	v_add_f32_e32 v30, v32, v30
	v_add_f32_e32 v32, v11, v81
	v_fmac_f32_e32 v82, 0xbe750f2a, v15
	v_add_f32_e32 v32, v32, v82
	v_fmac_f32_e32 v83, 0x3f6f5d39, v14
	;; [unrolled: 2-line block ×5, first 2 shown]
	v_add_f32_e32 v33, v32, v91
	v_fma_f32 v32, v40, s1, -v86
	v_add_f32_e32 v32, v29, v32
	v_fma_f32 v34, v41, s5, -v87
	;; [unrolled: 2-line block ×6, first 2 shown]
	v_fmac_f32_e32 v93, 0xbf52af12, v16
	v_fmac_f32_e32 v103, 0xbeedf032, v16
	v_add_f32_e32 v32, v32, v34
	v_add_f32_e32 v34, v11, v93
	;; [unrolled: 1-line block ×3, first 2 shown]
	v_fmac_f32_e32 v39, 0xbf52af12, v15
	v_add_f32_e32 v11, v11, v39
	v_fmac_f32_e32 v42, 0xbf7e222b, v14
	v_add_f32_e32 v11, v11, v42
	;; [unrolled: 2-line block ×3, first 2 shown]
	v_fmac_f32_e32 v45, 0xbf29c268, v12
	v_fmac_f32_e32 v94, 0xbf6f5d39, v15
	v_add_f32_e32 v11, v11, v45
	v_fmac_f32_e32 v107, 0xbe750f2a, v51
	v_add_f32_e32 v34, v34, v94
	v_fmac_f32_e32 v95, 0xbe750f2a, v14
	v_fmac_f32_e32 v97, 0x3f7e222b, v12
	v_add_f32_e32 v12, v11, v107
	v_fma_f32 v11, v40, s6, -v106
	v_add_f32_e32 v34, v34, v95
	v_fmac_f32_e32 v96, 0x3f29c268, v13
	v_add_f32_e32 v11, v29, v11
	v_fma_f32 v13, v41, s4, -v52
	v_add_f32_e32 v34, v34, v96
	v_add_f32_e32 v11, v11, v13
	v_fma_f32 v13, v54, s1, -v55
	v_add_f32_e32 v34, v34, v97
	v_fmac_f32_e32 v104, 0x3eedf032, v51
	v_add_f32_e32 v11, v11, v13
	v_mad_u64_u32 v[13:14], s[8:9], s2, v0, 0
	v_add_f32_e32 v35, v34, v104
	v_fma_f32 v34, v40, s4, -v98
	v_add_f32_e32 v34, v29, v34
	v_fma_f32 v36, v41, s7, -v99
	v_add_f32_e32 v34, v34, v36
	v_fma_f32 v36, v54, s5, -v100
	v_fma_f32 v15, v57, s7, -v65
	v_add_f32_e32 v34, v34, v36
	v_fma_f32 v36, v57, s0, -v101
	v_add_f32_e32 v16, v11, v15
	v_mov_b32_e32 v11, v14
	v_add_f32_e32 v34, v34, v36
	v_fma_f32 v36, v67, s1, -v102
	v_fma_f32 v29, v67, s0, -v68
	v_mad_u64_u32 v[14:15], s[0:1], s3, v0, v[11:12]
	v_add_f32_e32 v11, v16, v29
	v_fma_f32 v15, v70, s5, -v71
	v_add_f32_e32 v11, v11, v15
	v_mov_b32_e32 v15, s11
	v_addc_co_u32_e32 v6, vcc, v15, v6, vcc
	v_add_co_u32_e32 v16, vcc, v5, v1
	v_addc_co_u32_e32 v29, vcc, v6, v2, vcc
	v_lshlrev_b64 v[1:2], 3, v[13:14]
	v_add_u32_e32 v13, 17, v0
	v_mad_u64_u32 v[5:6], s[0:1], s2, v13, 0
	v_add_f32_e32 v34, v34, v36
	v_fma_f32 v36, v70, s6, -v105
	v_add_f32_e32 v34, v34, v36
	v_mad_u64_u32 v[13:14], s[0:1], s3, v13, v[6:7]
	v_add_u32_e32 v36, 34, v0
	v_mad_u64_u32 v[14:15], s[0:1], s2, v36, 0
	v_add_co_u32_e32 v1, vcc, v16, v1
	v_addc_co_u32_e32 v2, vcc, v29, v2, vcc
	v_mov_b32_e32 v6, v13
	global_store_dwordx2 v[1:2], v[27:28], off
	v_lshlrev_b64 v[1:2], 3, v[5:6]
	v_mov_b32_e32 v5, v15
	v_mad_u64_u32 v[5:6], s[0:1], s3, v36, v[5:6]
	v_add_u32_e32 v13, 51, v0
	v_add_co_u32_e32 v1, vcc, v16, v1
	v_mov_b32_e32 v15, v5
	v_mad_u64_u32 v[5:6], s[0:1], s2, v13, 0
	v_addc_co_u32_e32 v2, vcc, v29, v2, vcc
	global_store_dwordx2 v[1:2], v[25:26], off
	v_lshlrev_b64 v[1:2], 3, v[14:15]
	v_mad_u64_u32 v[13:14], s[0:1], s3, v13, v[6:7]
	v_add_u32_e32 v25, 0x44, v0
	v_mad_u64_u32 v[14:15], s[0:1], s2, v25, 0
	v_add_co_u32_e32 v1, vcc, v16, v1
	v_addc_co_u32_e32 v2, vcc, v29, v2, vcc
	v_mov_b32_e32 v6, v13
	global_store_dwordx2 v[1:2], v[23:24], off
	v_lshlrev_b64 v[1:2], 3, v[5:6]
	v_mov_b32_e32 v5, v15
	v_mad_u64_u32 v[5:6], s[0:1], s3, v25, v[5:6]
	v_add_u32_e32 v13, 0x55, v0
	v_add_co_u32_e32 v1, vcc, v16, v1
	v_mov_b32_e32 v15, v5
	v_mad_u64_u32 v[5:6], s[0:1], s2, v13, 0
	v_addc_co_u32_e32 v2, vcc, v29, v2, vcc
	global_store_dwordx2 v[1:2], v[21:22], off
	v_lshlrev_b64 v[1:2], 3, v[14:15]
	;; [unrolled: 17-line block ×3, first 2 shown]
	v_mad_u64_u32 v[13:14], s[0:1], s3, v13, v[6:7]
	v_add_u32_e32 v17, 0x88, v0
	v_mad_u64_u32 v[14:15], s[0:1], s2, v17, 0
	v_add_co_u32_e32 v1, vcc, v16, v1
	v_addc_co_u32_e32 v2, vcc, v29, v2, vcc
	v_mov_b32_e32 v6, v13
	global_store_dwordx2 v[1:2], v[9:10], off
	v_lshlrev_b64 v[1:2], 3, v[5:6]
	v_mov_b32_e32 v5, v15
	v_mad_u64_u32 v[5:6], s[0:1], s3, v17, v[5:6]
	v_add_co_u32_e32 v1, vcc, v16, v1
	v_addc_co_u32_e32 v2, vcc, v29, v2, vcc
	global_store_dwordx2 v[1:2], v[7:8], off
	v_add_u32_e32 v7, 0x99, v0
	v_mov_b32_e32 v15, v5
	v_mad_u64_u32 v[5:6], s[0:1], s2, v7, 0
	v_add_u32_e32 v9, 0xaa, v0
	v_lshlrev_b64 v[1:2], 3, v[14:15]
	v_mad_u64_u32 v[6:7], s[0:1], s3, v7, v[6:7]
	v_mad_u64_u32 v[7:8], s[0:1], s2, v9, 0
	v_add_co_u32_e32 v1, vcc, v16, v1
	v_addc_co_u32_e32 v2, vcc, v29, v2, vcc
	global_store_dwordx2 v[1:2], v[3:4], off
	v_mov_b32_e32 v3, v8
	v_mad_u64_u32 v[3:4], s[0:1], s3, v9, v[3:4]
	v_lshlrev_b64 v[1:2], 3, v[5:6]
	v_add_u32_e32 v5, 0xbb, v0
	v_mov_b32_e32 v8, v3
	v_mad_u64_u32 v[3:4], s[0:1], s2, v5, 0
	v_add_co_u32_e32 v1, vcc, v16, v1
	v_addc_co_u32_e32 v2, vcc, v29, v2, vcc
	global_store_dwordx2 v[1:2], v[30:31], off
	v_lshlrev_b64 v[1:2], 3, v[7:8]
	v_mad_u64_u32 v[4:5], s[0:1], s3, v5, v[4:5]
	v_add_u32_e32 v7, 0xcc, v0
	v_mad_u64_u32 v[5:6], s[0:1], s2, v7, 0
	v_add_co_u32_e32 v1, vcc, v16, v1
	v_addc_co_u32_e32 v2, vcc, v29, v2, vcc
	global_store_dwordx2 v[1:2], v[32:33], off
	v_mov_b32_e32 v2, v6
	v_lshlrev_b64 v[0:1], 3, v[3:4]
	v_mad_u64_u32 v[2:3], s[0:1], s3, v7, v[2:3]
	v_add_co_u32_e32 v0, vcc, v16, v0
	v_addc_co_u32_e32 v1, vcc, v29, v1, vcc
	v_mov_b32_e32 v6, v2
	global_store_dwordx2 v[0:1], v[34:35], off
	v_lshlrev_b64 v[0:1], 3, v[5:6]
	v_add_co_u32_e32 v0, vcc, v16, v0
	v_addc_co_u32_e32 v1, vcc, v29, v1, vcc
	global_store_dwordx2 v[0:1], v[11:12], off
.LBB0_18:
	s_endpgm
	.section	.rodata,"a",@progbits
	.p2align	6, 0x0
	.amdhsa_kernel fft_rtc_back_len221_factors_17_13_wgs_119_tpt_17_halfLds_sp_op_CI_CI_sbrr_dirReg
		.amdhsa_group_segment_fixed_size 0
		.amdhsa_private_segment_fixed_size 0
		.amdhsa_kernarg_size 104
		.amdhsa_user_sgpr_count 6
		.amdhsa_user_sgpr_private_segment_buffer 1
		.amdhsa_user_sgpr_dispatch_ptr 0
		.amdhsa_user_sgpr_queue_ptr 0
		.amdhsa_user_sgpr_kernarg_segment_ptr 1
		.amdhsa_user_sgpr_dispatch_id 0
		.amdhsa_user_sgpr_flat_scratch_init 0
		.amdhsa_user_sgpr_private_segment_size 0
		.amdhsa_uses_dynamic_stack 0
		.amdhsa_system_sgpr_private_segment_wavefront_offset 0
		.amdhsa_system_sgpr_workgroup_id_x 1
		.amdhsa_system_sgpr_workgroup_id_y 0
		.amdhsa_system_sgpr_workgroup_id_z 0
		.amdhsa_system_sgpr_workgroup_info 0
		.amdhsa_system_vgpr_workitem_id 0
		.amdhsa_next_free_vgpr 108
		.amdhsa_next_free_sgpr 32
		.amdhsa_reserve_vcc 1
		.amdhsa_reserve_flat_scratch 0
		.amdhsa_float_round_mode_32 0
		.amdhsa_float_round_mode_16_64 0
		.amdhsa_float_denorm_mode_32 3
		.amdhsa_float_denorm_mode_16_64 3
		.amdhsa_dx10_clamp 1
		.amdhsa_ieee_mode 1
		.amdhsa_fp16_overflow 0
		.amdhsa_exception_fp_ieee_invalid_op 0
		.amdhsa_exception_fp_denorm_src 0
		.amdhsa_exception_fp_ieee_div_zero 0
		.amdhsa_exception_fp_ieee_overflow 0
		.amdhsa_exception_fp_ieee_underflow 0
		.amdhsa_exception_fp_ieee_inexact 0
		.amdhsa_exception_int_div_zero 0
	.end_amdhsa_kernel
	.text
.Lfunc_end0:
	.size	fft_rtc_back_len221_factors_17_13_wgs_119_tpt_17_halfLds_sp_op_CI_CI_sbrr_dirReg, .Lfunc_end0-fft_rtc_back_len221_factors_17_13_wgs_119_tpt_17_halfLds_sp_op_CI_CI_sbrr_dirReg
                                        ; -- End function
	.section	.AMDGPU.csdata,"",@progbits
; Kernel info:
; codeLenInByte = 11340
; NumSgprs: 36
; NumVgprs: 108
; ScratchSize: 0
; MemoryBound: 0
; FloatMode: 240
; IeeeMode: 1
; LDSByteSize: 0 bytes/workgroup (compile time only)
; SGPRBlocks: 4
; VGPRBlocks: 26
; NumSGPRsForWavesPerEU: 36
; NumVGPRsForWavesPerEU: 108
; Occupancy: 2
; WaveLimiterHint : 1
; COMPUTE_PGM_RSRC2:SCRATCH_EN: 0
; COMPUTE_PGM_RSRC2:USER_SGPR: 6
; COMPUTE_PGM_RSRC2:TRAP_HANDLER: 0
; COMPUTE_PGM_RSRC2:TGID_X_EN: 1
; COMPUTE_PGM_RSRC2:TGID_Y_EN: 0
; COMPUTE_PGM_RSRC2:TGID_Z_EN: 0
; COMPUTE_PGM_RSRC2:TIDIG_COMP_CNT: 0
	.type	__hip_cuid_6c51076c35525544,@object ; @__hip_cuid_6c51076c35525544
	.section	.bss,"aw",@nobits
	.globl	__hip_cuid_6c51076c35525544
__hip_cuid_6c51076c35525544:
	.byte	0                               ; 0x0
	.size	__hip_cuid_6c51076c35525544, 1

	.ident	"AMD clang version 19.0.0git (https://github.com/RadeonOpenCompute/llvm-project roc-6.4.0 25133 c7fe45cf4b819c5991fe208aaa96edf142730f1d)"
	.section	".note.GNU-stack","",@progbits
	.addrsig
	.addrsig_sym __hip_cuid_6c51076c35525544
	.amdgpu_metadata
---
amdhsa.kernels:
  - .args:
      - .actual_access:  read_only
        .address_space:  global
        .offset:         0
        .size:           8
        .value_kind:     global_buffer
      - .offset:         8
        .size:           8
        .value_kind:     by_value
      - .actual_access:  read_only
        .address_space:  global
        .offset:         16
        .size:           8
        .value_kind:     global_buffer
      - .actual_access:  read_only
        .address_space:  global
        .offset:         24
        .size:           8
        .value_kind:     global_buffer
      - .actual_access:  read_only
        .address_space:  global
        .offset:         32
        .size:           8
        .value_kind:     global_buffer
      - .offset:         40
        .size:           8
        .value_kind:     by_value
      - .actual_access:  read_only
        .address_space:  global
        .offset:         48
        .size:           8
        .value_kind:     global_buffer
      - .actual_access:  read_only
        .address_space:  global
        .offset:         56
        .size:           8
        .value_kind:     global_buffer
      - .offset:         64
        .size:           4
        .value_kind:     by_value
      - .actual_access:  read_only
        .address_space:  global
        .offset:         72
        .size:           8
        .value_kind:     global_buffer
      - .actual_access:  read_only
        .address_space:  global
        .offset:         80
        .size:           8
        .value_kind:     global_buffer
      - .actual_access:  read_only
        .address_space:  global
        .offset:         88
        .size:           8
        .value_kind:     global_buffer
      - .actual_access:  write_only
        .address_space:  global
        .offset:         96
        .size:           8
        .value_kind:     global_buffer
    .group_segment_fixed_size: 0
    .kernarg_segment_align: 8
    .kernarg_segment_size: 104
    .language:       OpenCL C
    .language_version:
      - 2
      - 0
    .max_flat_workgroup_size: 119
    .name:           fft_rtc_back_len221_factors_17_13_wgs_119_tpt_17_halfLds_sp_op_CI_CI_sbrr_dirReg
    .private_segment_fixed_size: 0
    .sgpr_count:     36
    .sgpr_spill_count: 0
    .symbol:         fft_rtc_back_len221_factors_17_13_wgs_119_tpt_17_halfLds_sp_op_CI_CI_sbrr_dirReg.kd
    .uniform_work_group_size: 1
    .uses_dynamic_stack: false
    .vgpr_count:     108
    .vgpr_spill_count: 0
    .wavefront_size: 64
amdhsa.target:   amdgcn-amd-amdhsa--gfx906
amdhsa.version:
  - 1
  - 2
...

	.end_amdgpu_metadata
